;; amdgpu-corpus repo=ROCm/rocFFT kind=compiled arch=gfx1100 opt=O3
	.text
	.amdgcn_target "amdgcn-amd-amdhsa--gfx1100"
	.amdhsa_code_object_version 6
	.protected	fft_rtc_fwd_len1404_factors_2_2_3_13_3_3_wgs_117_tpt_117_halfLds_dp_ip_CI_unitstride_sbrr_dirReg ; -- Begin function fft_rtc_fwd_len1404_factors_2_2_3_13_3_3_wgs_117_tpt_117_halfLds_dp_ip_CI_unitstride_sbrr_dirReg
	.globl	fft_rtc_fwd_len1404_factors_2_2_3_13_3_3_wgs_117_tpt_117_halfLds_dp_ip_CI_unitstride_sbrr_dirReg
	.p2align	8
	.type	fft_rtc_fwd_len1404_factors_2_2_3_13_3_3_wgs_117_tpt_117_halfLds_dp_ip_CI_unitstride_sbrr_dirReg,@function
fft_rtc_fwd_len1404_factors_2_2_3_13_3_3_wgs_117_tpt_117_halfLds_dp_ip_CI_unitstride_sbrr_dirReg: ; @fft_rtc_fwd_len1404_factors_2_2_3_13_3_3_wgs_117_tpt_117_halfLds_dp_ip_CI_unitstride_sbrr_dirReg
; %bb.0:
	s_clause 0x2
	s_load_b128 s[4:7], s[0:1], 0x0
	s_load_b64 s[8:9], s[0:1], 0x50
	s_load_b64 s[10:11], s[0:1], 0x18
	v_mul_u32_u24_e32 v1, 0x231, v0
	v_mov_b32_e32 v3, 0
	v_mov_b32_e32 v4, 0
	s_delay_alu instid0(VALU_DEP_3) | instskip(SKIP_1) | instid1(VALU_DEP_1)
	v_lshrrev_b32_e32 v2, 16, v1
	v_mov_b32_e32 v1, 0
	v_dual_mov_b32 v6, v1 :: v_dual_add_nc_u32 v5, s15, v2
	s_waitcnt lgkmcnt(0)
	v_cmp_lt_u64_e64 s2, s[6:7], 2
	s_delay_alu instid0(VALU_DEP_1)
	s_and_b32 vcc_lo, exec_lo, s2
	s_cbranch_vccnz .LBB0_8
; %bb.1:
	s_load_b64 s[2:3], s[0:1], 0x10
	v_mov_b32_e32 v3, 0
	s_add_u32 s12, s10, 8
	v_mov_b32_e32 v4, 0
	s_addc_u32 s13, s11, 0
	s_mov_b64 s[16:17], 1
	s_waitcnt lgkmcnt(0)
	s_add_u32 s14, s2, 8
	s_addc_u32 s15, s3, 0
.LBB0_2:                                ; =>This Inner Loop Header: Depth=1
	s_load_b64 s[18:19], s[14:15], 0x0
                                        ; implicit-def: $vgpr7_vgpr8
	s_mov_b32 s2, exec_lo
	s_waitcnt lgkmcnt(0)
	v_or_b32_e32 v2, s19, v6
	s_delay_alu instid0(VALU_DEP_1)
	v_cmpx_ne_u64_e32 0, v[1:2]
	s_xor_b32 s3, exec_lo, s2
	s_cbranch_execz .LBB0_4
; %bb.3:                                ;   in Loop: Header=BB0_2 Depth=1
	v_cvt_f32_u32_e32 v2, s18
	v_cvt_f32_u32_e32 v7, s19
	s_sub_u32 s2, 0, s18
	s_subb_u32 s20, 0, s19
	s_delay_alu instid0(VALU_DEP_1) | instskip(NEXT) | instid1(VALU_DEP_1)
	v_fmac_f32_e32 v2, 0x4f800000, v7
	v_rcp_f32_e32 v2, v2
	s_waitcnt_depctr 0xfff
	v_mul_f32_e32 v2, 0x5f7ffffc, v2
	s_delay_alu instid0(VALU_DEP_1) | instskip(NEXT) | instid1(VALU_DEP_1)
	v_mul_f32_e32 v7, 0x2f800000, v2
	v_trunc_f32_e32 v7, v7
	s_delay_alu instid0(VALU_DEP_1) | instskip(SKIP_1) | instid1(VALU_DEP_2)
	v_fmac_f32_e32 v2, 0xcf800000, v7
	v_cvt_u32_f32_e32 v7, v7
	v_cvt_u32_f32_e32 v2, v2
	s_delay_alu instid0(VALU_DEP_2) | instskip(NEXT) | instid1(VALU_DEP_2)
	v_mul_lo_u32 v8, s2, v7
	v_mul_hi_u32 v9, s2, v2
	v_mul_lo_u32 v10, s20, v2
	s_delay_alu instid0(VALU_DEP_2) | instskip(SKIP_1) | instid1(VALU_DEP_2)
	v_add_nc_u32_e32 v8, v9, v8
	v_mul_lo_u32 v9, s2, v2
	v_add_nc_u32_e32 v8, v8, v10
	s_delay_alu instid0(VALU_DEP_2) | instskip(NEXT) | instid1(VALU_DEP_2)
	v_mul_hi_u32 v10, v2, v9
	v_mul_lo_u32 v11, v2, v8
	v_mul_hi_u32 v12, v2, v8
	v_mul_hi_u32 v13, v7, v9
	v_mul_lo_u32 v9, v7, v9
	v_mul_hi_u32 v14, v7, v8
	v_mul_lo_u32 v8, v7, v8
	v_add_co_u32 v10, vcc_lo, v10, v11
	v_add_co_ci_u32_e32 v11, vcc_lo, 0, v12, vcc_lo
	s_delay_alu instid0(VALU_DEP_2) | instskip(NEXT) | instid1(VALU_DEP_2)
	v_add_co_u32 v9, vcc_lo, v10, v9
	v_add_co_ci_u32_e32 v9, vcc_lo, v11, v13, vcc_lo
	v_add_co_ci_u32_e32 v10, vcc_lo, 0, v14, vcc_lo
	s_delay_alu instid0(VALU_DEP_2) | instskip(NEXT) | instid1(VALU_DEP_2)
	v_add_co_u32 v8, vcc_lo, v9, v8
	v_add_co_ci_u32_e32 v9, vcc_lo, 0, v10, vcc_lo
	s_delay_alu instid0(VALU_DEP_2) | instskip(NEXT) | instid1(VALU_DEP_2)
	v_add_co_u32 v2, vcc_lo, v2, v8
	v_add_co_ci_u32_e32 v7, vcc_lo, v7, v9, vcc_lo
	s_delay_alu instid0(VALU_DEP_2) | instskip(SKIP_1) | instid1(VALU_DEP_3)
	v_mul_hi_u32 v8, s2, v2
	v_mul_lo_u32 v10, s20, v2
	v_mul_lo_u32 v9, s2, v7
	s_delay_alu instid0(VALU_DEP_1) | instskip(SKIP_1) | instid1(VALU_DEP_2)
	v_add_nc_u32_e32 v8, v8, v9
	v_mul_lo_u32 v9, s2, v2
	v_add_nc_u32_e32 v8, v8, v10
	s_delay_alu instid0(VALU_DEP_2) | instskip(NEXT) | instid1(VALU_DEP_2)
	v_mul_hi_u32 v10, v2, v9
	v_mul_lo_u32 v11, v2, v8
	v_mul_hi_u32 v12, v2, v8
	v_mul_hi_u32 v13, v7, v9
	v_mul_lo_u32 v9, v7, v9
	v_mul_hi_u32 v14, v7, v8
	v_mul_lo_u32 v8, v7, v8
	v_add_co_u32 v10, vcc_lo, v10, v11
	v_add_co_ci_u32_e32 v11, vcc_lo, 0, v12, vcc_lo
	s_delay_alu instid0(VALU_DEP_2) | instskip(NEXT) | instid1(VALU_DEP_2)
	v_add_co_u32 v9, vcc_lo, v10, v9
	v_add_co_ci_u32_e32 v9, vcc_lo, v11, v13, vcc_lo
	v_add_co_ci_u32_e32 v10, vcc_lo, 0, v14, vcc_lo
	s_delay_alu instid0(VALU_DEP_2) | instskip(NEXT) | instid1(VALU_DEP_2)
	v_add_co_u32 v8, vcc_lo, v9, v8
	v_add_co_ci_u32_e32 v9, vcc_lo, 0, v10, vcc_lo
	s_delay_alu instid0(VALU_DEP_2) | instskip(NEXT) | instid1(VALU_DEP_2)
	v_add_co_u32 v2, vcc_lo, v2, v8
	v_add_co_ci_u32_e32 v13, vcc_lo, v7, v9, vcc_lo
	s_delay_alu instid0(VALU_DEP_2) | instskip(SKIP_1) | instid1(VALU_DEP_3)
	v_mul_hi_u32 v14, v5, v2
	v_mad_u64_u32 v[9:10], null, v6, v2, 0
	v_mad_u64_u32 v[7:8], null, v5, v13, 0
	;; [unrolled: 1-line block ×3, first 2 shown]
	s_delay_alu instid0(VALU_DEP_2) | instskip(NEXT) | instid1(VALU_DEP_3)
	v_add_co_u32 v2, vcc_lo, v14, v7
	v_add_co_ci_u32_e32 v7, vcc_lo, 0, v8, vcc_lo
	s_delay_alu instid0(VALU_DEP_2) | instskip(NEXT) | instid1(VALU_DEP_2)
	v_add_co_u32 v2, vcc_lo, v2, v9
	v_add_co_ci_u32_e32 v2, vcc_lo, v7, v10, vcc_lo
	v_add_co_ci_u32_e32 v7, vcc_lo, 0, v12, vcc_lo
	s_delay_alu instid0(VALU_DEP_2) | instskip(NEXT) | instid1(VALU_DEP_2)
	v_add_co_u32 v2, vcc_lo, v2, v11
	v_add_co_ci_u32_e32 v9, vcc_lo, 0, v7, vcc_lo
	s_delay_alu instid0(VALU_DEP_2) | instskip(SKIP_1) | instid1(VALU_DEP_3)
	v_mul_lo_u32 v10, s19, v2
	v_mad_u64_u32 v[7:8], null, s18, v2, 0
	v_mul_lo_u32 v11, s18, v9
	s_delay_alu instid0(VALU_DEP_2) | instskip(NEXT) | instid1(VALU_DEP_2)
	v_sub_co_u32 v7, vcc_lo, v5, v7
	v_add3_u32 v8, v8, v11, v10
	s_delay_alu instid0(VALU_DEP_1) | instskip(NEXT) | instid1(VALU_DEP_1)
	v_sub_nc_u32_e32 v10, v6, v8
	v_subrev_co_ci_u32_e64 v10, s2, s19, v10, vcc_lo
	v_add_co_u32 v11, s2, v2, 2
	s_delay_alu instid0(VALU_DEP_1) | instskip(SKIP_3) | instid1(VALU_DEP_3)
	v_add_co_ci_u32_e64 v12, s2, 0, v9, s2
	v_sub_co_u32 v13, s2, v7, s18
	v_sub_co_ci_u32_e32 v8, vcc_lo, v6, v8, vcc_lo
	v_subrev_co_ci_u32_e64 v10, s2, 0, v10, s2
	v_cmp_le_u32_e32 vcc_lo, s18, v13
	s_delay_alu instid0(VALU_DEP_3) | instskip(SKIP_1) | instid1(VALU_DEP_4)
	v_cmp_eq_u32_e64 s2, s19, v8
	v_cndmask_b32_e64 v13, 0, -1, vcc_lo
	v_cmp_le_u32_e32 vcc_lo, s19, v10
	v_cndmask_b32_e64 v14, 0, -1, vcc_lo
	v_cmp_le_u32_e32 vcc_lo, s18, v7
	;; [unrolled: 2-line block ×3, first 2 shown]
	v_cndmask_b32_e64 v15, 0, -1, vcc_lo
	v_cmp_eq_u32_e32 vcc_lo, s19, v10
	s_delay_alu instid0(VALU_DEP_2) | instskip(SKIP_3) | instid1(VALU_DEP_3)
	v_cndmask_b32_e64 v7, v15, v7, s2
	v_cndmask_b32_e32 v10, v14, v13, vcc_lo
	v_add_co_u32 v13, vcc_lo, v2, 1
	v_add_co_ci_u32_e32 v14, vcc_lo, 0, v9, vcc_lo
	v_cmp_ne_u32_e32 vcc_lo, 0, v10
	s_delay_alu instid0(VALU_DEP_2) | instskip(NEXT) | instid1(VALU_DEP_4)
	v_cndmask_b32_e32 v8, v14, v12, vcc_lo
	v_cndmask_b32_e32 v10, v13, v11, vcc_lo
	v_cmp_ne_u32_e32 vcc_lo, 0, v7
	s_delay_alu instid0(VALU_DEP_2)
	v_dual_cndmask_b32 v7, v2, v10 :: v_dual_cndmask_b32 v8, v9, v8
.LBB0_4:                                ;   in Loop: Header=BB0_2 Depth=1
	s_and_not1_saveexec_b32 s2, s3
	s_cbranch_execz .LBB0_6
; %bb.5:                                ;   in Loop: Header=BB0_2 Depth=1
	v_cvt_f32_u32_e32 v2, s18
	s_sub_i32 s3, 0, s18
	s_delay_alu instid0(VALU_DEP_1) | instskip(SKIP_2) | instid1(VALU_DEP_1)
	v_rcp_iflag_f32_e32 v2, v2
	s_waitcnt_depctr 0xfff
	v_mul_f32_e32 v2, 0x4f7ffffe, v2
	v_cvt_u32_f32_e32 v2, v2
	s_delay_alu instid0(VALU_DEP_1) | instskip(NEXT) | instid1(VALU_DEP_1)
	v_mul_lo_u32 v7, s3, v2
	v_mul_hi_u32 v7, v2, v7
	s_delay_alu instid0(VALU_DEP_1) | instskip(NEXT) | instid1(VALU_DEP_1)
	v_add_nc_u32_e32 v2, v2, v7
	v_mul_hi_u32 v2, v5, v2
	s_delay_alu instid0(VALU_DEP_1) | instskip(SKIP_1) | instid1(VALU_DEP_2)
	v_mul_lo_u32 v7, v2, s18
	v_add_nc_u32_e32 v8, 1, v2
	v_sub_nc_u32_e32 v7, v5, v7
	s_delay_alu instid0(VALU_DEP_1) | instskip(SKIP_1) | instid1(VALU_DEP_2)
	v_subrev_nc_u32_e32 v9, s18, v7
	v_cmp_le_u32_e32 vcc_lo, s18, v7
	v_dual_cndmask_b32 v7, v7, v9 :: v_dual_cndmask_b32 v2, v2, v8
	s_delay_alu instid0(VALU_DEP_1) | instskip(NEXT) | instid1(VALU_DEP_2)
	v_cmp_le_u32_e32 vcc_lo, s18, v7
	v_add_nc_u32_e32 v8, 1, v2
	s_delay_alu instid0(VALU_DEP_1)
	v_dual_cndmask_b32 v7, v2, v8 :: v_dual_mov_b32 v8, v1
.LBB0_6:                                ;   in Loop: Header=BB0_2 Depth=1
	s_or_b32 exec_lo, exec_lo, s2
	s_load_b64 s[2:3], s[12:13], 0x0
	s_delay_alu instid0(VALU_DEP_1) | instskip(NEXT) | instid1(VALU_DEP_2)
	v_mul_lo_u32 v2, v8, s18
	v_mul_lo_u32 v11, v7, s19
	v_mad_u64_u32 v[9:10], null, v7, s18, 0
	s_add_u32 s16, s16, 1
	s_addc_u32 s17, s17, 0
	s_add_u32 s12, s12, 8
	s_addc_u32 s13, s13, 0
	;; [unrolled: 2-line block ×3, first 2 shown]
	s_delay_alu instid0(VALU_DEP_1) | instskip(SKIP_1) | instid1(VALU_DEP_2)
	v_add3_u32 v2, v10, v11, v2
	v_sub_co_u32 v9, vcc_lo, v5, v9
	v_sub_co_ci_u32_e32 v2, vcc_lo, v6, v2, vcc_lo
	s_waitcnt lgkmcnt(0)
	s_delay_alu instid0(VALU_DEP_2) | instskip(NEXT) | instid1(VALU_DEP_2)
	v_mul_lo_u32 v10, s3, v9
	v_mul_lo_u32 v2, s2, v2
	v_mad_u64_u32 v[5:6], null, s2, v9, v[3:4]
	v_cmp_ge_u64_e64 s2, s[16:17], s[6:7]
	s_delay_alu instid0(VALU_DEP_1) | instskip(NEXT) | instid1(VALU_DEP_2)
	s_and_b32 vcc_lo, exec_lo, s2
	v_add3_u32 v4, v10, v6, v2
	s_delay_alu instid0(VALU_DEP_3)
	v_mov_b32_e32 v3, v5
	s_cbranch_vccnz .LBB0_9
; %bb.7:                                ;   in Loop: Header=BB0_2 Depth=1
	v_dual_mov_b32 v5, v7 :: v_dual_mov_b32 v6, v8
	s_branch .LBB0_2
.LBB0_8:
	v_dual_mov_b32 v8, v6 :: v_dual_mov_b32 v7, v5
.LBB0_9:
	s_lshl_b64 s[2:3], s[6:7], 3
                                        ; implicit-def: $vgpr38_vgpr39
                                        ; implicit-def: $vgpr14_vgpr15
                                        ; implicit-def: $vgpr42_vgpr43
                                        ; implicit-def: $vgpr18_vgpr19
                                        ; implicit-def: $vgpr46_vgpr47
                                        ; implicit-def: $vgpr26_vgpr27
                                        ; implicit-def: $vgpr22_vgpr23
                                        ; implicit-def: $vgpr30_vgpr31
                                        ; implicit-def: $vgpr34_vgpr35
                                        ; implicit-def: $vgpr10_vgpr11
	s_delay_alu instid0(SALU_CYCLE_1)
	s_add_u32 s2, s10, s2
	s_addc_u32 s3, s11, s3
	s_load_b64 s[2:3], s[2:3], 0x0
	s_load_b64 s[0:1], s[0:1], 0x20
	s_waitcnt lgkmcnt(0)
	v_mul_lo_u32 v5, s2, v8
	v_mul_lo_u32 v6, s3, v7
	v_mad_u64_u32 v[1:2], null, s2, v7, v[3:4]
	v_mul_hi_u32 v3, 0x2302303, v0
	v_cmp_gt_u64_e32 vcc_lo, s[0:1], v[7:8]
	s_delay_alu instid0(VALU_DEP_3) | instskip(NEXT) | instid1(VALU_DEP_3)
	v_add3_u32 v2, v6, v2, v5
                                        ; implicit-def: $vgpr6_vgpr7
	v_mul_u32_u24_e32 v3, 0x75, v3
	s_delay_alu instid0(VALU_DEP_2) | instskip(NEXT) | instid1(VALU_DEP_2)
	v_lshlrev_b64 v[48:49], 4, v[1:2]
	v_sub_nc_u32_e32 v50, v0, v3
                                        ; implicit-def: $vgpr2_vgpr3
	s_and_saveexec_b32 s1, vcc_lo
	s_cbranch_execz .LBB0_11
; %bb.10:
	v_mov_b32_e32 v51, 0
	s_delay_alu instid0(VALU_DEP_3) | instskip(NEXT) | instid1(VALU_DEP_1)
	v_add_co_u32 v2, s0, s8, v48
	v_add_co_ci_u32_e64 v3, s0, s9, v49, s0
	s_delay_alu instid0(VALU_DEP_3) | instskip(NEXT) | instid1(VALU_DEP_1)
	v_lshlrev_b64 v[0:1], 4, v[50:51]
	v_add_co_u32 v12, s0, v2, v0
	s_delay_alu instid0(VALU_DEP_1) | instskip(NEXT) | instid1(VALU_DEP_2)
	v_add_co_ci_u32_e64 v13, s0, v3, v1, s0
	v_add_co_u32 v14, s0, 0x2000, v12
	s_delay_alu instid0(VALU_DEP_1) | instskip(SKIP_1) | instid1(VALU_DEP_1)
	v_add_co_ci_u32_e64 v15, s0, 0, v13, s0
	v_add_co_u32 v0, s0, 0x3000, v12
	v_add_co_ci_u32_e64 v1, s0, 0, v13, s0
	v_add_co_u32 v16, s0, 0x1000, v12
	s_delay_alu instid0(VALU_DEP_1) | instskip(SKIP_1) | instid1(VALU_DEP_1)
	v_add_co_ci_u32_e64 v17, s0, 0, v13, s0
	v_add_co_u32 v36, s0, 0x4000, v12
	v_add_co_ci_u32_e64 v37, s0, 0, v13, s0
	v_add_co_u32 v38, s0, 0x5000, v12
	s_delay_alu instid0(VALU_DEP_1)
	v_add_co_ci_u32_e64 v39, s0, 0, v13, s0
	s_clause 0xb
	global_load_b128 v[8:11], v[12:13], off
	global_load_b128 v[4:7], v[12:13], off offset:1872
	global_load_b128 v[32:35], v[14:15], off offset:3040
	;; [unrolled: 1-line block ×11, first 2 shown]
.LBB0_11:
	s_or_b32 exec_lo, exec_lo, s1
	s_waitcnt vmcnt(9)
	v_add_f64 v[32:33], v[8:9], -v[32:33]
	v_add_f64 v[59:60], v[10:11], -v[34:35]
	s_waitcnt vmcnt(8)
	v_add_f64 v[28:29], v[4:5], -v[28:29]
	v_add_f64 v[63:64], v[6:7], -v[30:31]
	;; [unrolled: 3-line block ×3, first 2 shown]
	v_add_f64 v[44:45], v[0:1], -v[44:45]
	v_add_f64 v[67:68], v[2:3], -v[46:47]
	s_waitcnt vmcnt(1)
	v_add_f64 v[40:41], v[16:17], -v[40:41]
	v_add_f64 v[75:76], v[18:19], -v[42:43]
	s_waitcnt vmcnt(0)
	v_add_f64 v[36:37], v[12:13], -v[36:37]
	v_add_f64 v[79:80], v[14:15], -v[38:39]
	v_add_nc_u32_e32 v89, 0x75, v50
	v_add_nc_u32_e32 v86, 0x15f, v50
	;; [unrolled: 1-line block ×3, first 2 shown]
	v_and_b32_e32 v82, 1, v50
	v_add_nc_u32_e32 v88, 0xea, v50
	v_and_b32_e32 v83, 1, v89
	v_and_b32_e32 v84, 1, v86
	;; [unrolled: 1-line block ×3, first 2 shown]
	v_add_nc_u32_e32 v71, 0x1d4, v50
	v_lshlrev_b32_e32 v70, 4, v82
	v_lshlrev_b32_e32 v90, 4, v83
	v_lshl_add_u32 v46, v88, 4, 0
	v_lshlrev_b32_e32 v91, 4, v84
	v_lshl_add_u32 v47, v86, 4, 0
	;; [unrolled: 2-line block ×3, first 2 shown]
	v_lshl_add_u32 v69, v81, 4, 0
	v_and_b32_e32 v112, 3, v50
	v_and_b32_e32 v113, 3, v89
	;; [unrolled: 1-line block ×4, first 2 shown]
	s_mov_b32 s2, 0xe8584caa
	s_mov_b32 s3, 0x3febb67a
	;; [unrolled: 1-line block ×4, first 2 shown]
	v_cmp_gt_u32_e64 s0, 0x6c, v50
	v_fma_f64 v[30:31], v[8:9], 2.0, -v[32:33]
	v_fma_f64 v[57:58], v[10:11], 2.0, -v[59:60]
	;; [unrolled: 1-line block ×12, first 2 shown]
	v_lshl_add_u32 v20, v50, 4, 0
	v_lshlrev_b32_e32 v0, 3, v50
	v_lshl_add_u32 v21, v89, 4, 0
	ds_store_b128 v20, v[30:33]
	ds_store_b128 v21, v[26:29]
	;; [unrolled: 1-line block ×6, first 2 shown]
	v_sub_nc_u32_e32 v87, v20, v0
	s_waitcnt lgkmcnt(0)
	s_barrier
	buffer_gl0_inv
	v_add_nc_u32_e32 v98, 0x1400, v87
	v_add_nc_u32_e32 v52, 0x400, v87
	;; [unrolled: 1-line block ×5, first 2 shown]
	ds_load_2addr_b64 v[0:3], v87 offset1:117
	ds_load_2addr_b64 v[4:7], v98 offset0:62 offset1:179
	ds_load_2addr_b64 v[8:11], v52 offset0:106 offset1:223
	;; [unrolled: 1-line block ×5, first 2 shown]
	s_waitcnt lgkmcnt(0)
	s_barrier
	buffer_gl0_inv
	ds_store_b128 v20, v[57:60]
	ds_store_b128 v21, v[61:64]
	;; [unrolled: 1-line block ×6, first 2 shown]
	s_waitcnt lgkmcnt(0)
	s_barrier
	buffer_gl0_inv
	s_clause 0x3
	global_load_b128 v[20:23], v70, s[4:5]
	global_load_b128 v[30:33], v90, s[4:5]
	;; [unrolled: 1-line block ×4, first 2 shown]
	ds_load_2addr_b64 v[42:45], v98 offset0:62 offset1:179
	ds_load_2addr_b64 v[53:56], v94 offset0:40 offset1:157
	;; [unrolled: 1-line block ×3, first 2 shown]
	v_lshlrev_b32_e32 v51, 1, v50
	v_lshlrev_b32_e32 v75, 5, v114
	s_waitcnt vmcnt(3) lgkmcnt(2)
	v_mul_f64 v[24:25], v[42:43], v[22:23]
	v_mul_f64 v[69:70], v[4:5], v[22:23]
	s_waitcnt vmcnt(2)
	v_mul_f64 v[46:47], v[44:45], v[32:33]
	v_mul_f64 v[32:33], v[6:7], v[32:33]
	s_waitcnt lgkmcnt(1)
	v_mul_f64 v[61:62], v[53:54], v[22:23]
	v_mul_f64 v[73:74], v[12:13], v[22:23]
	s_waitcnt vmcnt(1)
	v_mul_f64 v[63:64], v[55:56], v[36:37]
	v_mul_f64 v[36:37], v[14:15], v[36:37]
	s_waitcnt lgkmcnt(0)
	v_mul_f64 v[65:66], v[57:58], v[22:23]
	v_mul_f64 v[22:23], v[26:27], v[22:23]
	s_waitcnt vmcnt(0)
	v_mul_f64 v[67:68], v[59:60], v[40:41]
	v_mul_f64 v[40:41], v[28:29], v[40:41]
	v_fma_f64 v[24:25], v[4:5], v[20:21], -v[24:25]
	v_fma_f64 v[42:43], v[42:43], v[20:21], v[69:70]
	v_fma_f64 v[46:47], v[6:7], v[30:31], -v[46:47]
	v_fma_f64 v[30:31], v[44:45], v[30:31], v[32:33]
	;; [unrolled: 2-line block ×6, first 2 shown]
	ds_load_2addr_b64 v[4:7], v87 offset1:117
	ds_load_2addr_b64 v[12:15], v52 offset0:106 offset1:223
	ds_load_2addr_b64 v[20:23], v72 offset0:84 offset1:201
	v_and_or_b32 v56, 0xfc, v51, v82
	v_lshlrev_b32_e32 v68, 1, v71
	v_lshlrev_b32_e32 v53, 1, v89
	;; [unrolled: 1-line block ×4, first 2 shown]
	v_lshl_add_u32 v71, v56, 3, 0
	v_lshlrev_b32_e32 v69, 1, v81
	v_and_or_b32 v73, 0x1fc, v53, v83
	v_and_or_b32 v74, 0x3fc, v54, v82
	v_lshlrev_b32_e32 v70, 5, v112
	v_lshlrev_b32_e32 v81, 5, v115
	s_waitcnt lgkmcnt(0)
	s_barrier
	buffer_gl0_inv
	v_add_f64 v[24:25], v[0:1], -v[24:25]
	v_add_f64 v[42:43], v[4:5], -v[42:43]
	;; [unrolled: 1-line block ×12, first 2 shown]
	v_fma_f64 v[0:1], v[0:1], 2.0, -v[24:25]
	v_fma_f64 v[56:57], v[4:5], 2.0, -v[42:43]
	;; [unrolled: 1-line block ×12, first 2 shown]
	v_and_or_b32 v4, 0x3fc, v55, v84
	v_and_or_b32 v5, 0x7fc, v68, v82
	;; [unrolled: 1-line block ×3, first 2 shown]
	v_lshl_add_u32 v69, v73, 3, 0
	v_lshlrev_b32_e32 v68, 5, v113
	v_lshl_add_u32 v73, v74, 3, 0
	v_lshl_add_u32 v74, v4, 3, 0
	;; [unrolled: 1-line block ×4, first 2 shown]
	ds_store_2addr_b64 v71, v[0:1], v[24:25] offset1:2
	ds_store_2addr_b64 v69, v[2:3], v[40:41] offset1:2
	;; [unrolled: 1-line block ×6, first 2 shown]
	s_waitcnt lgkmcnt(0)
	s_barrier
	buffer_gl0_inv
	ds_load_2addr_b64 v[0:3], v87 offset1:117
	ds_load_2addr_b64 v[4:7], v72 offset0:84 offset1:201
	ds_load_2addr_b64 v[8:11], v94 offset0:40 offset1:157
	;; [unrolled: 1-line block ×5, first 2 shown]
	s_waitcnt lgkmcnt(0)
	s_barrier
	buffer_gl0_inv
	ds_store_2addr_b64 v71, v[56:57], v[42:43] offset1:2
	ds_store_2addr_b64 v69, v[58:59], v[30:31] offset1:2
	;; [unrolled: 1-line block ×6, first 2 shown]
	s_waitcnt lgkmcnt(0)
	s_barrier
	buffer_gl0_inv
	s_clause 0x7
	global_load_b128 v[24:27], v70, s[4:5] offset:32
	global_load_b128 v[28:31], v70, s[4:5] offset:48
	;; [unrolled: 1-line block ×8, first 2 shown]
	ds_load_2addr_b64 v[90:93], v72 offset0:84 offset1:201
	ds_load_2addr_b64 v[94:97], v94 offset0:40 offset1:157
	;; [unrolled: 1-line block ×4, first 2 shown]
	s_waitcnt vmcnt(7) lgkmcnt(3)
	v_mul_f64 v[32:33], v[90:91], v[26:27]
	s_waitcnt vmcnt(6) lgkmcnt(2)
	v_mul_f64 v[34:35], v[94:95], v[30:31]
	s_waitcnt vmcnt(5)
	v_mul_f64 v[36:37], v[92:93], v[46:47]
	s_waitcnt vmcnt(4)
	v_mul_f64 v[38:39], v[96:97], v[62:63]
	s_waitcnt vmcnt(3) lgkmcnt(1)
	v_mul_f64 v[40:41], v[98:99], v[68:69]
	s_waitcnt vmcnt(2) lgkmcnt(0)
	v_mul_f64 v[64:65], v[102:103], v[75:76]
	s_waitcnt vmcnt(1)
	v_mul_f64 v[70:71], v[100:101], v[79:80]
	s_waitcnt vmcnt(0)
	v_mul_f64 v[106:107], v[104:105], v[83:84]
	v_mul_f64 v[26:27], v[4:5], v[26:27]
	;; [unrolled: 1-line block ×9, first 2 shown]
	v_fma_f64 v[56:57], v[4:5], v[24:25], -v[32:33]
	v_fma_f64 v[58:59], v[8:9], v[28:29], -v[34:35]
	;; [unrolled: 1-line block ×8, first 2 shown]
	v_fma_f64 v[62:63], v[90:91], v[24:25], v[26:27]
	v_fma_f64 v[64:65], v[92:93], v[44:45], v[108:109]
	;; [unrolled: 1-line block ×8, first 2 shown]
	v_lshrrev_b32_e32 v91, 2, v88
	v_lshrrev_b32_e32 v90, 2, v86
                                        ; implicit-def: $vgpr82_vgpr83
	v_add_f64 v[16:17], v[0:1], v[56:57]
	v_add_f64 v[4:5], v[56:57], v[58:59]
	;; [unrolled: 1-line block ×8, first 2 shown]
	v_add_f64 v[18:19], v[62:63], -v[34:35]
	v_add_f64 v[28:29], v[64:65], -v[44:45]
	;; [unrolled: 1-line block ×4, first 2 shown]
	v_fma_f64 v[0:1], v[4:5], -0.5, v[0:1]
	v_add_f64 v[4:5], v[16:17], v[58:59]
	v_fma_f64 v[2:3], v[6:7], -0.5, v[2:3]
	v_add_f64 v[22:23], v[20:21], v[42:43]
	;; [unrolled: 2-line block ×4, first 2 shown]
	v_fma_f64 v[6:7], v[18:19], s[2:3], v[0:1]
	v_fma_f64 v[20:21], v[18:19], s[6:7], v[0:1]
	;; [unrolled: 1-line block ×8, first 2 shown]
	v_lshrrev_b32_e32 v0, 2, v50
	v_lshrrev_b32_e32 v1, 2, v89
	v_mul_u32_u24_e32 v2, 12, v91
	v_mul_u32_u24_e32 v3, 12, v90
	s_delay_alu instid0(VALU_DEP_4) | instskip(NEXT) | instid1(VALU_DEP_4)
	v_mul_u32_u24_e32 v0, 12, v0
	v_mul_u32_u24_e32 v1, 12, v1
	s_delay_alu instid0(VALU_DEP_4) | instskip(NEXT) | instid1(VALU_DEP_4)
	v_or_b32_e32 v77, v2, v114
	v_or_b32_e32 v78, v3, v115
	s_delay_alu instid0(VALU_DEP_4) | instskip(NEXT) | instid1(VALU_DEP_4)
	v_or_b32_e32 v73, v0, v112
	v_or_b32_e32 v74, v1, v113
	ds_load_2addr_b64 v[28:31], v87 offset1:117
	ds_load_2addr_b64 v[0:3], v52 offset0:106 offset1:223
	s_waitcnt lgkmcnt(0)
	s_barrier
	v_lshl_add_u32 v76, v73, 3, 0
	v_lshl_add_u32 v75, v74, 3, 0
	;; [unrolled: 1-line block ×4, first 2 shown]
	buffer_gl0_inv
	ds_store_2addr_b64 v76, v[4:5], v[6:7] offset1:4
	ds_store_b64 v76, v[20:21] offset:64
	ds_store_2addr_b64 v75, v[22:23], v[24:25] offset1:4
	ds_store_b64 v75, v[26:27] offset:64
	;; [unrolled: 2-line block ×4, first 2 shown]
	s_waitcnt lgkmcnt(0)
	s_barrier
	buffer_gl0_inv
	s_and_saveexec_b32 s1, s0
	s_cbranch_execz .LBB0_13
; %bb.12:
	v_add_nc_u32_e32 v8, 0x1000, v87
	v_add_nc_u32_e32 v9, 0x1800, v87
	;; [unrolled: 1-line block ×3, first 2 shown]
	ds_load_2addr_b64 v[4:7], v87 offset1:108
	ds_load_2addr_b64 v[20:23], v52 offset0:88 offset1:196
	ds_load_2addr_b64 v[24:27], v72 offset0:48 offset1:156
	;; [unrolled: 1-line block ×5, first 2 shown]
	ds_load_b64 v[82:83], v87 offset:10368
.LBB0_13:
	s_or_b32 exec_lo, exec_lo, s1
	v_add_f64 v[77:78], v[62:63], v[34:35]
	v_add_f64 v[79:80], v[64:65], v[44:45]
	;; [unrolled: 1-line block ×5, first 2 shown]
	v_add_f64 v[56:57], v[56:57], -v[58:59]
	v_add_f64 v[58:59], v[30:31], v[64:65]
	v_add_f64 v[64:65], v[0:1], v[66:67]
	v_add_f64 v[66:67], v[2:3], v[70:71]
	v_add_f64 v[36:37], v[36:37], -v[42:43]
	v_add_f64 v[38:39], v[38:39], -v[46:47]
	s_waitcnt lgkmcnt(0)
	s_barrier
	buffer_gl0_inv
	v_fma_f64 v[28:29], v[77:78], -0.5, v[28:29]
	v_fma_f64 v[70:71], v[79:80], -0.5, v[30:31]
	;; [unrolled: 1-line block ×3, first 2 shown]
	v_add_f64 v[79:80], v[32:33], -v[40:41]
	v_fma_f64 v[84:85], v[92:93], -0.5, v[2:3]
	v_add_f64 v[0:1], v[62:63], v[34:35]
	v_add_f64 v[42:43], v[58:59], v[44:45]
	;; [unrolled: 1-line block ×4, first 2 shown]
	v_fma_f64 v[2:3], v[56:57], s[6:7], v[28:29]
	v_fma_f64 v[40:41], v[56:57], s[2:3], v[28:29]
	v_fma_f64 v[44:45], v[36:37], s[6:7], v[70:71]
	v_fma_f64 v[46:47], v[36:37], s[2:3], v[70:71]
	v_fma_f64 v[34:35], v[38:39], s[6:7], v[77:78]
	v_fma_f64 v[28:29], v[38:39], s[2:3], v[77:78]
	v_fma_f64 v[36:37], v[79:80], s[6:7], v[84:85]
	v_fma_f64 v[38:39], v[79:80], s[2:3], v[84:85]
                                        ; implicit-def: $vgpr84_vgpr85
	ds_store_2addr_b64 v76, v[0:1], v[2:3] offset1:4
	ds_store_b64 v76, v[40:41] offset:64
	ds_store_2addr_b64 v75, v[42:43], v[44:45] offset1:4
	ds_store_b64 v75, v[46:47] offset:64
	;; [unrolled: 2-line block ×4, first 2 shown]
	s_waitcnt lgkmcnt(0)
	s_barrier
	buffer_gl0_inv
	s_and_saveexec_b32 s1, s0
	s_cbranch_execz .LBB0_15
; %bb.14:
	v_add_nc_u32_e32 v28, 0x400, v87
	v_add_nc_u32_e32 v29, 0xc00, v87
	;; [unrolled: 1-line block ×5, first 2 shown]
	ds_load_2addr_b64 v[0:3], v87 offset1:108
	ds_load_2addr_b64 v[40:43], v28 offset0:88 offset1:196
	ds_load_2addr_b64 v[44:47], v29 offset0:48 offset1:156
	;; [unrolled: 1-line block ×5, first 2 shown]
	ds_load_b64 v[84:85], v87 offset:10368
.LBB0_15:
	s_or_b32 exec_lo, exec_lo, s1
	v_and_b32_e32 v52, 0xff, v50
	s_delay_alu instid0(VALU_DEP_1) | instskip(NEXT) | instid1(VALU_DEP_1)
	v_mul_lo_u16 v52, 0xab, v52
	v_lshrrev_b16 v52, 11, v52
	s_delay_alu instid0(VALU_DEP_1) | instskip(SKIP_1) | instid1(VALU_DEP_2)
	v_mul_lo_u16 v56, v52, 12
	v_and_b32_e32 v52, 0xffff, v52
	v_sub_nc_u16 v56, v50, v56
	s_delay_alu instid0(VALU_DEP_1) | instskip(NEXT) | instid1(VALU_DEP_1)
	v_and_b32_e32 v144, 0xff, v56
	v_mul_u32_u24_e32 v56, 12, v144
	s_delay_alu instid0(VALU_DEP_1)
	v_lshlrev_b32_e32 v64, 4, v56
	s_clause 0xb
	global_load_b128 v[56:59], v64, s[4:5] offset:176
	global_load_b128 v[60:63], v64, s[4:5] offset:192
	;; [unrolled: 1-line block ×12, first 2 shown]
	s_waitcnt vmcnt(0) lgkmcnt(0)
	s_barrier
	buffer_gl0_inv
	v_mul_f64 v[64:65], v[40:41], v[58:59]
	v_mul_f64 v[58:59], v[20:21], v[58:59]
	;; [unrolled: 1-line block ×24, first 2 shown]
	v_fma_f64 v[76:77], v[20:21], v[56:57], -v[64:65]
	v_fma_f64 v[70:71], v[40:41], v[56:57], v[58:59]
	v_fma_f64 v[72:73], v[22:23], v[60:61], -v[72:73]
	v_fma_f64 v[68:69], v[42:43], v[60:61], v[62:63]
	v_fma_f64 v[64:65], v[24:25], v[66:67], -v[120:121]
	v_fma_f64 v[62:63], v[44:45], v[66:67], v[122:123]
	v_fma_f64 v[58:59], v[26:27], v[74:75], -v[124:125]
	v_fma_f64 v[46:47], v[46:47], v[74:75], v[126:127]
	v_fma_f64 v[42:43], v[12:13], v[78:79], -v[128:129]
	v_fma_f64 v[32:33], v[32:33], v[78:79], v[80:81]
	v_fma_f64 v[44:45], v[14:15], v[92:93], -v[130:131]
	v_fma_f64 v[34:35], v[34:35], v[92:93], v[94:95]
	v_fma_f64 v[80:81], v[6:7], v[96:97], -v[132:133]
	v_fma_f64 v[78:79], v[2:3], v[96:97], v[98:99]
	v_fma_f64 v[60:61], v[8:9], v[100:101], -v[134:135]
	v_fma_f64 v[56:57], v[28:29], v[100:101], v[102:103]
	v_fma_f64 v[66:67], v[10:11], v[104:105], -v[136:137]
	v_fma_f64 v[40:41], v[30:31], v[104:105], v[106:107]
	v_fma_f64 v[74:75], v[16:17], v[108:109], -v[138:139]
	v_fma_f64 v[30:31], v[36:37], v[108:109], v[110:111]
	v_fma_f64 v[36:37], v[18:19], v[112:113], -v[140:141]
	v_fma_f64 v[28:29], v[38:39], v[112:113], v[114:115]
	v_fma_f64 v[38:39], v[82:83], v[116:117], -v[142:143]
	v_fma_f64 v[26:27], v[84:85], v[116:117], v[118:119]
	v_lshlrev_b32_e32 v82, 3, v144
	s_and_saveexec_b32 s1, s0
	s_cbranch_execz .LBB0_17
; %bb.16:
	v_add_f64 v[2:3], v[4:5], v[80:81]
	s_delay_alu instid0(VALU_DEP_3)
	v_add_f64 v[8:9], v[78:79], -v[26:27]
	v_add_f64 v[6:7], v[70:71], -v[28:29]
	;; [unrolled: 1-line block ×6, first 2 shown]
	s_mov_b32 s24, 0x66966769
	s_mov_b32 s22, 0x2ef20147
	s_mov_b32 s20, 0x42a4c3d2
	s_mov_b32 s18, 0x24c2f84
	s_mov_b32 s26, 0x4bc48dbf
	s_mov_b32 s25, 0x3fefc445
	s_mov_b32 s23, 0xbfedeba7
	s_mov_b32 s21, 0x3fea55e2
	s_mov_b32 s19, 0xbfe5384d
	s_mov_b32 s27, 0xbfcea1e5
	s_mov_b32 s29, 0xbfea55e2
	s_mov_b32 s31, 0xbfefc445
	s_mov_b32 s28, s20
	s_mov_b32 s30, s24
	v_add_f64 v[18:19], v[80:81], v[38:39]
	s_mov_b32 s3, 0x3fddbe06
	s_mov_b32 s2, 0x4267c47c
	s_mov_b32 s10, 0xebaa3ed8
	s_mov_b32 s6, 0xb2365da1
	s_mov_b32 s14, 0xd0032e0c
	s_mov_b32 s12, 0x93053d00
	s_mov_b32 s11, 0x3fbedb7d
	s_mov_b32 s7, 0xbfd6b1d8
	s_mov_b32 s35, 0x3fe5384d
	s_mov_b32 s34, s18
	s_mov_b32 s15, 0xbfe7f3cc
	s_mov_b32 s13, 0xbfef11f4
	v_add_f64 v[104:105], v[76:77], v[36:37]
	s_mov_b32 s16, 0xe00740e9
	s_mov_b32 s17, 0x3fec55a7
	;; [unrolled: 1-line block ×3, first 2 shown]
	v_add_f64 v[2:3], v[2:3], v[76:77]
	v_mul_f64 v[22:23], v[8:9], s[26:27]
	v_mul_f64 v[83:84], v[8:9], s[18:19]
	;; [unrolled: 1-line block ×10, first 2 shown]
	s_mov_b32 s3, 0xbfddbe06
	v_mul_f64 v[106:107], v[6:7], s[24:25]
	v_mul_f64 v[8:9], v[8:9], s[2:3]
	s_mov_b32 s2, 0x1ea71119
	s_mov_b32 s3, 0x3fe22d96
	v_mul_f64 v[108:109], v[6:7], s[34:35]
	v_mul_f64 v[110:111], v[6:7], s[26:27]
	;; [unrolled: 1-line block ×4, first 2 shown]
	s_mov_b32 s36, s22
	v_mul_f64 v[126:127], v[12:13], s[18:19]
	v_mul_f64 v[128:129], v[12:13], s[28:29]
	v_mul_f64 v[130:131], v[12:13], s[36:37]
	v_mul_f64 v[132:133], v[12:13], s[26:27]
	v_mul_f64 v[12:13], v[12:13], s[30:31]
	s_mov_b32 s37, 0x3fcea1e5
	s_mov_b32 s36, s26
	v_mul_f64 v[148:149], v[14:15], s[30:31]
	v_mul_f64 v[146:147], v[14:15], s[36:37]
	;; [unrolled: 1-line block ×3, first 2 shown]
	v_add_f64 v[2:3], v[2:3], v[72:73]
	v_fma_f64 v[114:115], v[18:19], s[12:13], v[22:23]
	v_fma_f64 v[22:23], v[18:19], s[12:13], -v[22:23]
	v_fma_f64 v[116:117], v[18:19], s[14:15], v[83:84]
	v_fma_f64 v[83:84], v[18:19], s[14:15], -v[83:84]
	;; [unrolled: 2-line block ×3, first 2 shown]
	v_fma_f64 v[122:123], v[18:19], s[2:3], -v[100:101]
	v_fma_f64 v[94:95], v[18:19], s[6:7], -v[94:95]
	v_fma_f64 v[98:99], v[18:19], s[10:11], v[98:99]
	v_fma_f64 v[100:101], v[18:19], s[2:3], v[100:101]
	;; [unrolled: 1-line block ×3, first 2 shown]
	v_fma_f64 v[20:21], v[104:105], s[16:17], -v[20:21]
	v_fma_f64 v[124:125], v[18:19], s[16:17], -v[8:9]
	v_fma_f64 v[8:9], v[18:19], s[16:17], v[8:9]
	v_add_f64 v[18:19], v[72:73], v[74:75]
	v_fma_f64 v[136:137], v[104:105], s[10:11], v[106:107]
	v_fma_f64 v[106:107], v[104:105], s[10:11], -v[106:107]
	v_fma_f64 v[138:139], v[104:105], s[14:15], v[108:109]
	v_fma_f64 v[108:109], v[104:105], s[14:15], -v[108:109]
	;; [unrolled: 2-line block ×5, first 2 shown]
	v_add_f64 v[2:3], v[2:3], v[64:65]
	v_add_f64 v[104:105], v[4:5], v[114:115]
	;; [unrolled: 1-line block ×14, first 2 shown]
	v_mul_f64 v[124:125], v[14:15], s[20:21]
	v_mul_f64 v[14:15], v[14:15], s[22:23]
	v_fma_f64 v[152:153], v[18:19], s[14:15], v[126:127]
	v_fma_f64 v[126:127], v[18:19], s[14:15], -v[126:127]
	v_fma_f64 v[154:155], v[18:19], s[2:3], v[128:129]
	v_fma_f64 v[128:129], v[18:19], s[2:3], -v[128:129]
	;; [unrolled: 2-line block ×6, first 2 shown]
	v_add_f64 v[2:3], v[2:3], v[58:59]
	v_add_f64 v[18:19], v[134:135], v[104:105]
	;; [unrolled: 1-line block ×12, first 2 shown]
	v_mul_f64 v[112:113], v[10:11], s[22:23]
	v_add_f64 v[6:7], v[6:7], v[122:123]
	v_add_f64 v[4:5], v[144:145], v[4:5]
	v_mul_f64 v[114:115], v[10:11], s[36:37]
	v_mul_f64 v[116:117], v[10:11], s[28:29]
	;; [unrolled: 1-line block ×3, first 2 shown]
	v_fma_f64 v[120:121], v[8:9], s[2:3], v[124:125]
	v_fma_f64 v[122:123], v[8:9], s[2:3], -v[124:125]
	v_fma_f64 v[124:125], v[8:9], s[12:13], v[146:147]
	v_fma_f64 v[134:135], v[8:9], s[12:13], -v[146:147]
	v_fma_f64 v[136:137], v[8:9], s[10:11], v[148:149]
	v_fma_f64 v[138:139], v[8:9], s[10:11], -v[148:149]
	v_fma_f64 v[140:141], v[8:9], s[16:17], v[96:97]
	v_fma_f64 v[96:97], v[8:9], s[16:17], -v[96:97]
	v_fma_f64 v[142:143], v[8:9], s[14:15], v[150:151]
	v_fma_f64 v[144:145], v[8:9], s[14:15], -v[150:151]
	v_fma_f64 v[146:147], v[8:9], s[6:7], v[14:15]
	v_fma_f64 v[8:9], v[8:9], s[6:7], -v[14:15]
	v_mul_f64 v[10:11], v[10:11], s[18:19]
	v_add_f64 v[2:3], v[2:3], v[42:43]
	v_add_f64 v[14:15], v[152:153], v[18:19]
	;; [unrolled: 1-line block ×11, first 2 shown]
	v_mul_f64 v[100:101], v[16:17], s[24:25]
	v_mul_f64 v[110:111], v[16:17], s[22:23]
	v_add_f64 v[6:7], v[12:13], v[6:7]
	v_add_f64 v[4:5], v[162:163], v[4:5]
	;; [unrolled: 1-line block ×3, first 2 shown]
	v_mul_f64 v[126:127], v[16:17], s[20:21]
	v_mul_f64 v[128:129], v[16:17], s[18:19]
	;; [unrolled: 1-line block ×3, first 2 shown]
	v_fma_f64 v[130:131], v[108:109], s[6:7], v[112:113]
	v_fma_f64 v[112:113], v[108:109], s[6:7], -v[112:113]
	v_fma_f64 v[132:133], v[108:109], s[16:17], v[24:25]
	v_fma_f64 v[24:25], v[108:109], s[16:17], -v[24:25]
	v_fma_f64 v[148:149], v[108:109], s[12:13], v[114:115]
	v_fma_f64 v[150:151], v[108:109], s[2:3], v[116:117]
	v_fma_f64 v[116:117], v[108:109], s[2:3], -v[116:117]
	v_fma_f64 v[152:153], v[108:109], s[10:11], v[118:119]
	v_fma_f64 v[118:119], v[108:109], s[10:11], -v[118:119]
	v_fma_f64 v[114:115], v[108:109], s[12:13], -v[114:115]
	v_fma_f64 v[154:155], v[108:109], s[14:15], v[10:11]
	v_fma_f64 v[10:11], v[108:109], s[14:15], -v[10:11]
	v_add_f64 v[2:3], v[2:3], v[44:45]
	v_add_f64 v[14:15], v[120:121], v[14:15]
	;; [unrolled: 1-line block ×13, first 2 shown]
	v_fma_f64 v[8:9], v[12:13], s[10:11], v[100:101]
	v_fma_f64 v[100:101], v[12:13], s[10:11], -v[100:101]
	v_fma_f64 v[106:107], v[12:13], s[6:7], v[110:111]
	v_fma_f64 v[108:109], v[12:13], s[6:7], -v[110:111]
	;; [unrolled: 2-line block ×6, first 2 shown]
	v_add_f64 v[2:3], v[2:3], v[60:61]
	v_add_f64 v[14:15], v[130:131], v[14:15]
	;; [unrolled: 1-line block ×26, first 2 shown]
	v_mul_u32_u24_e32 v12, 0x4e0, v52
	s_delay_alu instid0(VALU_DEP_1) | instskip(SKIP_1) | instid1(VALU_DEP_1)
	v_add3_u32 v12, 0, v12, v82
	v_add_f64 v[2:3], v[2:3], v[74:75]
	v_add_f64 v[2:3], v[2:3], v[36:37]
	s_delay_alu instid0(VALU_DEP_1)
	v_add_f64 v[2:3], v[2:3], v[38:39]
	ds_store_2addr_b64 v12, v[22:23], v[20:21] offset0:24 offset1:36
	ds_store_2addr_b64 v12, v[24:25], v[16:17] offset0:48 offset1:60
	;; [unrolled: 1-line block ×5, first 2 shown]
	ds_store_2addr_b64 v12, v[2:3], v[6:7] offset1:12
	ds_store_b64 v12, v[4:5] offset:1152
.LBB0_17:
	s_or_b32 exec_lo, exec_lo, s1
	v_add_nc_u32_e32 v83, 0xc00, v87
	v_add_nc_u32_e32 v84, 0x1c00, v87
	;; [unrolled: 1-line block ×5, first 2 shown]
	s_waitcnt lgkmcnt(0)
	s_barrier
	buffer_gl0_inv
	ds_load_2addr_b64 v[2:5], v87 offset1:117
	ds_load_2addr_b64 v[18:21], v83 offset0:84 offset1:201
	ds_load_2addr_b64 v[22:25], v84 offset0:40 offset1:157
	;; [unrolled: 1-line block ×5, first 2 shown]
	s_waitcnt lgkmcnt(0)
	s_barrier
	buffer_gl0_inv
	s_and_saveexec_b32 s33, s0
	s_cbranch_execz .LBB0_19
; %bb.18:
	v_add_f64 v[94:95], v[0:1], v[78:79]
	v_add_f64 v[38:39], v[80:81], -v[38:39]
	s_mov_b32 s24, 0x42a4c3d2
	s_mov_b32 s28, 0x66966769
	;; [unrolled: 1-line block ×11, first 2 shown]
	v_add_f64 v[36:37], v[76:77], -v[36:37]
	v_add_f64 v[76:77], v[78:79], v[26:27]
	s_mov_b32 s21, 0xbfcea1e5
	s_mov_b32 s0, 0xe00740e9
	;; [unrolled: 1-line block ×16, first 2 shown]
	v_add_f64 v[72:73], v[72:73], -v[74:75]
	s_mov_b32 s23, 0xbfef11f4
	s_mov_b32 s35, 0x3fedeba7
	;; [unrolled: 1-line block ×3, first 2 shown]
	v_add_f64 v[64:65], v[64:65], -v[66:67]
	s_mov_b32 s37, 0x3fcea1e5
	s_mov_b32 s36, s20
	v_add_f64 v[94:95], v[94:95], v[70:71]
	v_mul_f64 v[78:79], v[38:39], s[10:11]
	v_mul_f64 v[96:97], v[38:39], s[28:29]
	;; [unrolled: 1-line block ×4, first 2 shown]
	s_mov_b32 s11, 0x3fddbe06
	v_add_f64 v[70:71], v[70:71], v[28:29]
	v_add_f64 v[58:59], v[58:59], -v[60:61]
	v_add_f64 v[42:43], v[42:43], -v[44:45]
	v_mul_f64 v[74:75], v[36:37], s[24:25]
	v_mul_f64 v[102:103], v[36:37], s[12:13]
	;; [unrolled: 1-line block ×10, first 2 shown]
	s_mov_b32 s35, 0x3fea55e2
	s_mov_b32 s34, s24
	v_mul_f64 v[60:61], v[64:65], s[12:13]
	v_add_f64 v[94:95], v[94:95], v[68:69]
	v_fma_f64 v[110:111], v[76:77], s[0:1], v[78:79]
	v_fma_f64 v[114:115], v[76:77], s[2:3], v[96:97]
	;; [unrolled: 1-line block ×3, first 2 shown]
	v_fma_f64 v[98:99], v[76:77], s[16:17], -v[98:99]
	v_fma_f64 v[118:119], v[76:77], s[18:19], v[100:101]
	v_fma_f64 v[100:101], v[76:77], s[18:19], -v[100:101]
	v_fma_f64 v[96:97], v[76:77], s[2:3], -v[96:97]
	v_add_f64 v[68:69], v[68:69], v[30:31]
	v_mul_f64 v[140:141], v[64:65], s[36:37]
	v_mul_f64 v[142:143], v[64:65], s[34:35]
	;; [unrolled: 1-line block ×3, first 2 shown]
	v_fma_f64 v[128:129], v[70:71], s[6:7], v[74:75]
	v_fma_f64 v[74:75], v[70:71], s[6:7], -v[74:75]
	v_fma_f64 v[130:131], v[70:71], s[16:17], v[102:103]
	v_fma_f64 v[102:103], v[70:71], s[16:17], -v[102:103]
	;; [unrolled: 2-line block ×6, first 2 shown]
	v_add_f64 v[80:81], v[94:95], v[62:63]
	v_mul_f64 v[94:95], v[38:39], s[24:25]
	v_mul_f64 v[38:39], v[38:39], s[20:21]
	v_add_f64 v[70:71], v[0:1], v[110:111]
	v_add_f64 v[98:99], v[0:1], v[98:99]
	;; [unrolled: 1-line block ×5, first 2 shown]
	v_fma_f64 v[144:145], v[68:69], s[2:3], v[66:67]
	v_fma_f64 v[66:67], v[68:69], s[2:3], -v[66:67]
	v_fma_f64 v[148:149], v[68:69], s[16:17], v[122:123]
	v_fma_f64 v[122:123], v[68:69], s[16:17], -v[122:123]
	;; [unrolled: 2-line block ×4, first 2 shown]
	v_add_f64 v[80:81], v[80:81], v[46:47]
	v_fma_f64 v[112:113], v[76:77], s[6:7], v[94:95]
	v_fma_f64 v[94:95], v[76:77], s[6:7], -v[94:95]
	v_fma_f64 v[120:121], v[76:77], s[22:23], v[38:39]
	v_fma_f64 v[38:39], v[76:77], s[22:23], -v[38:39]
	v_fma_f64 v[76:77], v[76:77], s[0:1], -v[78:79]
	v_mul_f64 v[78:79], v[72:73], s[20:21]
	v_mul_f64 v[72:73], v[72:73], s[10:11]
	v_add_f64 v[70:71], v[128:129], v[70:71]
	v_add_f64 v[98:99], v[106:107], v[98:99]
	;; [unrolled: 1-line block ×4, first 2 shown]
	v_mul_f64 v[104:105], v[58:59], s[12:13]
	v_fma_f64 v[128:129], v[62:63], s[22:23], -v[140:141]
	v_add_f64 v[80:81], v[80:81], v[32:33]
	v_add_f64 v[110:111], v[0:1], v[112:113]
	;; [unrolled: 1-line block ×9, first 2 shown]
	v_mul_f64 v[76:77], v[64:65], s[30:31]
	v_mul_f64 v[120:121], v[64:65], s[28:29]
	;; [unrolled: 1-line block ×3, first 2 shown]
	v_fma_f64 v[146:147], v[68:69], s[22:23], v[78:79]
	v_fma_f64 v[78:79], v[68:69], s[22:23], -v[78:79]
	v_fma_f64 v[154:155], v[68:69], s[0:1], v[72:73]
	v_fma_f64 v[68:69], v[68:69], s[0:1], -v[72:73]
	v_add_f64 v[96:97], v[122:123], v[96:97]
	v_add_f64 v[32:33], v[32:33], v[34:35]
	;; [unrolled: 1-line block ×12, first 2 shown]
	v_mul_f64 v[74:75], v[58:59], s[24:25]
	v_mul_f64 v[100:101], v[58:59], s[36:37]
	v_fma_f64 v[108:109], v[62:63], s[16:17], v[60:61]
	v_fma_f64 v[60:61], v[62:63], s[16:17], -v[60:61]
	v_fma_f64 v[114:115], v[62:63], s[18:19], v[76:77]
	v_fma_f64 v[76:77], v[62:63], s[18:19], -v[76:77]
	;; [unrolled: 2-line block ×3, first 2 shown]
	v_fma_f64 v[120:121], v[62:63], s[22:23], v[140:141]
	v_fma_f64 v[130:131], v[62:63], s[6:7], v[142:143]
	v_fma_f64 v[132:133], v[62:63], s[6:7], -v[142:143]
	v_fma_f64 v[134:135], v[62:63], s[0:1], v[64:65]
	v_fma_f64 v[62:63], v[62:63], s[0:1], -v[64:65]
	v_add_f64 v[64:65], v[144:145], v[70:71]
	v_add_f64 v[68:69], v[68:69], v[98:99]
	v_mul_f64 v[34:35], v[42:43], s[20:21]
	v_fma_f64 v[136:137], v[46:47], s[16:17], v[104:105]
	v_fma_f64 v[104:105], v[46:47], s[16:17], -v[104:105]
	v_add_f64 v[80:81], v[80:81], v[56:57]
	v_mul_f64 v[56:57], v[58:59], s[26:27]
	v_mul_f64 v[58:59], v[58:59], s[10:11]
	v_add_f64 v[70:71], v[146:147], v[72:73]
	v_add_f64 v[72:73], v[78:79], v[94:95]
	;; [unrolled: 1-line block ×9, first 2 shown]
	v_mul_f64 v[66:67], v[42:43], s[14:15]
	v_mul_f64 v[106:107], v[42:43], s[12:13]
	;; [unrolled: 1-line block ×3, first 2 shown]
	v_fma_f64 v[112:113], v[46:47], s[18:19], v[44:45]
	v_fma_f64 v[44:45], v[46:47], s[18:19], -v[44:45]
	v_fma_f64 v[124:125], v[46:47], s[6:7], v[74:75]
	v_fma_f64 v[74:75], v[46:47], s[6:7], -v[74:75]
	;; [unrolled: 2-line block ×3, first 2 shown]
	v_add_f64 v[62:63], v[62:63], v[96:97]
	v_add_f64 v[68:69], v[118:119], v[68:69]
	v_add_f64 v[40:41], v[80:81], v[40:41]
	v_mul_f64 v[80:81], v[42:43], s[34:35]
	v_mul_f64 v[42:43], v[42:43], s[10:11]
	v_fma_f64 v[122:123], v[46:47], s[2:3], v[56:57]
	v_fma_f64 v[56:57], v[46:47], s[2:3], -v[56:57]
	v_fma_f64 v[138:139], v[46:47], s[0:1], v[58:59]
	v_fma_f64 v[46:47], v[46:47], s[0:1], -v[58:59]
	v_add_f64 v[58:59], v[108:109], v[64:65]
	v_add_f64 v[64:65], v[114:115], v[70:71]
	;; [unrolled: 1-line block ×10, first 2 shown]
	v_fma_f64 v[60:61], v[32:33], s[18:19], v[66:67]
	v_fma_f64 v[66:67], v[32:33], s[18:19], -v[66:67]
	v_fma_f64 v[98:99], v[32:33], s[16:17], v[106:107]
	v_fma_f64 v[102:103], v[32:33], s[16:17], -v[106:107]
	;; [unrolled: 2-line block ×3, first 2 shown]
	v_add_f64 v[68:69], v[100:101], v[68:69]
	v_add_f64 v[30:31], v[40:41], v[30:31]
	v_fma_f64 v[40:41], v[32:33], s[22:23], v[34:35]
	v_fma_f64 v[34:35], v[32:33], s[22:23], -v[34:35]
	v_fma_f64 v[96:97], v[32:33], s[6:7], v[80:81]
	v_fma_f64 v[80:81], v[32:33], s[6:7], -v[80:81]
	v_fma_f64 v[110:111], v[32:33], s[0:1], v[42:43]
	v_fma_f64 v[32:33], v[32:33], s[0:1], -v[42:43]
	v_add_f64 v[42:43], v[112:113], v[58:59]
	v_add_f64 v[58:59], v[122:123], v[64:65]
	;; [unrolled: 1-line block ×25, first 2 shown]
	v_mul_u32_u24_e32 v28, 0x4e0, v52
	s_delay_alu instid0(VALU_DEP_1)
	v_add3_u32 v28, 0, v28, v82
	ds_store_2addr_b64 v28, v[40:41], v[42:43] offset0:24 offset1:36
	ds_store_2addr_b64 v28, v[44:45], v[58:59] offset0:48 offset1:60
	;; [unrolled: 1-line block ×5, first 2 shown]
	ds_store_2addr_b64 v28, v[26:27], v[30:31] offset1:12
	ds_store_b64 v28, v[0:1] offset:1152
.LBB0_19:
	s_or_b32 exec_lo, exec_lo, s33
	v_lshrrev_b16 v0, 2, v88
	v_lshrrev_b16 v1, 2, v86
	v_subrev_nc_u32_e32 v26, 39, v50
	v_cmp_gt_u32_e64 s0, 39, v50
	s_waitcnt lgkmcnt(0)
	v_and_b32_e32 v0, 0xffff, v0
	v_dual_mov_b32 v52, 0 :: v_dual_and_b32 v1, 0xffff, v1
	s_delay_alu instid0(VALU_DEP_3) | instskip(SKIP_1) | instid1(VALU_DEP_3)
	v_cndmask_b32_e64 v82, v26, v89, s0
	s_barrier
	v_mul_u32_u24_e32 v0, 0xd21, v0
	s_delay_alu instid0(VALU_DEP_3)
	v_mul_u32_u24_e32 v1, 0xd21, v1
	buffer_gl0_inv
	s_mov_b32 s2, 0xe8584caa
	s_mov_b32 s3, 0x3febb67a
	v_lshrrev_b32_e32 v108, 17, v0
	v_lshrrev_b32_e32 v26, 17, v1
	v_lshlrev_b64 v[0:1], 4, v[51:52]
	v_lshlrev_b32_e32 v51, 1, v82
	s_mov_b32 s7, 0xbfebb67a
	v_mul_lo_u16 v27, 0x9c, v108
	v_mul_lo_u16 v26, 0x9c, v26
	s_mov_b32 s6, s2
	v_lshlrev_b64 v[28:29], 4, v[51:52]
	s_delay_alu instid0(VALU_DEP_3) | instskip(NEXT) | instid1(VALU_DEP_3)
	v_sub_nc_u16 v30, v88, v27
	v_sub_nc_u16 v31, v86, v26
	v_add_co_u32 v26, s0, s4, v0
	s_delay_alu instid0(VALU_DEP_1) | instskip(NEXT) | instid1(VALU_DEP_4)
	v_add_co_ci_u32_e64 v27, s0, s5, v1, s0
	v_and_b32_e32 v51, 0xffff, v30
	v_add_co_u32 v0, s0, s4, v28
	v_and_b32_e32 v109, 0xffff, v31
	v_add_co_ci_u32_e64 v1, s0, s5, v29, s0
	s_clause 0x1
	global_load_b128 v[28:31], v[26:27], off offset:2480
	global_load_b128 v[32:35], v[26:27], off offset:2464
	v_lshlrev_b32_e32 v56, 5, v51
	v_lshlrev_b32_e32 v64, 5, v109
	s_clause 0x5
	global_load_b128 v[36:39], v[0:1], off offset:2464
	global_load_b128 v[40:43], v[0:1], off offset:2480
	global_load_b128 v[44:47], v56, s[4:5] offset:2464
	global_load_b128 v[56:59], v56, s[4:5] offset:2480
	;; [unrolled: 1-line block ×4, first 2 shown]
	ds_load_2addr_b64 v[68:71], v83 offset0:84 offset1:201
	ds_load_2addr_b64 v[72:75], v84 offset0:40 offset1:157
	;; [unrolled: 1-line block ×4, first 2 shown]
	v_cmp_lt_u32_e64 s0, 38, v50
	v_lshlrev_b32_e32 v51, 3, v51
	s_waitcnt vmcnt(7) lgkmcnt(2)
	v_mul_f64 v[80:81], v[72:73], v[30:31]
	s_waitcnt vmcnt(6)
	v_mul_f64 v[0:1], v[68:69], v[34:35]
	s_waitcnt vmcnt(5)
	;; [unrolled: 2-line block ×3, first 2 shown]
	v_mul_f64 v[98:99], v[74:75], v[42:43]
	s_waitcnt vmcnt(3) lgkmcnt(1)
	v_mul_f64 v[100:101], v[76:77], v[46:47]
	s_waitcnt vmcnt(2) lgkmcnt(0)
	v_mul_f64 v[102:103], v[94:95], v[58:59]
	s_waitcnt vmcnt(1)
	v_mul_f64 v[104:105], v[78:79], v[62:63]
	s_waitcnt vmcnt(0)
	v_mul_f64 v[106:107], v[96:97], v[66:67]
	v_mul_f64 v[34:35], v[18:19], v[34:35]
	;; [unrolled: 1-line block ×9, first 2 shown]
	v_fma_f64 v[0:1], v[18:19], v[32:33], -v[0:1]
	v_fma_f64 v[18:19], v[22:23], v[28:29], -v[80:81]
	;; [unrolled: 1-line block ×8, first 2 shown]
	v_fma_f64 v[32:33], v[68:69], v[32:33], v[34:35]
	v_fma_f64 v[28:29], v[72:73], v[28:29], v[30:31]
	;; [unrolled: 1-line block ×8, first 2 shown]
	ds_load_2addr_b64 v[10:13], v87 offset1:117
	ds_load_2addr_b64 v[14:17], v85 offset0:106 offset1:223
	s_waitcnt lgkmcnt(0)
	s_barrier
	buffer_gl0_inv
	v_add_f64 v[68:69], v[2:3], v[0:1]
	v_add_f64 v[44:45], v[0:1], v[18:19]
	;; [unrolled: 1-line block ×8, first 2 shown]
	v_add_f64 v[0:1], v[0:1], -v[18:19]
	v_add_f64 v[60:61], v[32:33], v[28:29]
	v_add_f64 v[70:71], v[32:33], -v[28:29]
	v_add_f64 v[62:63], v[30:31], v[34:35]
	v_add_f64 v[32:33], v[10:11], v[32:33]
	v_add_f64 v[64:65], v[36:37], v[38:39]
	v_add_f64 v[20:21], v[20:21], -v[22:23]
	v_add_f64 v[66:67], v[40:41], v[42:43]
	v_add_f64 v[24:25], v[24:25], -v[80:81]
	v_add_f64 v[18:19], v[68:69], v[18:19]
	v_fma_f64 v[2:3], v[44:45], -0.5, v[2:3]
	v_add_f64 v[44:45], v[30:31], -v[34:35]
	v_fma_f64 v[4:5], v[46:47], -0.5, v[4:5]
	v_add_f64 v[46:47], v[36:37], -v[38:39]
	;; [unrolled: 2-line block ×3, first 2 shown]
	v_fma_f64 v[8:9], v[58:59], -0.5, v[8:9]
	v_add_f64 v[36:37], v[14:15], v[36:37]
	v_fma_f64 v[10:11], v[60:61], -0.5, v[10:11]
	v_add_f64 v[30:31], v[12:13], v[30:31]
	v_add_f64 v[40:41], v[16:17], v[40:41]
	v_fma_f64 v[12:13], v[62:63], -0.5, v[12:13]
	v_fma_f64 v[14:15], v[64:65], -0.5, v[14:15]
	v_add_f64 v[58:59], v[88:89], -v[98:99]
	v_fma_f64 v[16:17], v[66:67], -0.5, v[16:17]
	v_add_f64 v[22:23], v[72:73], v[22:23]
	v_add_f64 v[60:61], v[74:75], v[80:81]
	;; [unrolled: 1-line block ×4, first 2 shown]
	v_lshl_add_u32 v72, v109, 3, 0
	v_fma_f64 v[64:65], v[70:71], s[2:3], v[2:3]
	v_fma_f64 v[2:3], v[70:71], s[6:7], v[2:3]
	;; [unrolled: 1-line block ×8, first 2 shown]
	v_cndmask_b32_e64 v56, 0, 0xea0, s0
	v_lshlrev_b32_e32 v57, 3, v82
	v_add_f64 v[32:33], v[36:37], v[38:39]
	v_fma_f64 v[36:37], v[0:1], s[6:7], v[10:11]
	v_fma_f64 v[38:39], v[0:1], s[2:3], v[10:11]
	v_add_f64 v[30:31], v[30:31], v[34:35]
	v_add_f64 v[34:35], v[40:41], v[42:43]
	v_fma_f64 v[40:41], v[20:21], s[6:7], v[12:13]
	v_fma_f64 v[42:43], v[20:21], s[2:3], v[12:13]
	v_add3_u32 v70, 0, v56, v57
	v_fma_f64 v[56:57], v[24:25], s[6:7], v[14:15]
	v_fma_f64 v[24:25], v[24:25], s[2:3], v[14:15]
	;; [unrolled: 1-line block ×4, first 2 shown]
	v_mul_u32_u24_e32 v71, 0xea0, v108
	s_delay_alu instid0(VALU_DEP_1)
	v_add3_u32 v51, 0, v71, v51
	v_add_nc_u32_e32 v71, 0x1c00, v72
	ds_store_2addr_b64 v87, v[18:19], v[64:65] offset1:156
	ds_store_b64 v87, v[2:3] offset:2496
	ds_store_2addr_b64 v70, v[22:23], v[66:67] offset1:156
	ds_store_b64 v70, v[4:5] offset:2496
	;; [unrolled: 2-line block ×3, first 2 shown]
	ds_store_2addr_b64 v71, v[62:63], v[46:47] offset0:40 offset1:196
	ds_store_b64 v72, v[8:9] offset:9984
	s_waitcnt lgkmcnt(0)
	s_barrier
	buffer_gl0_inv
	ds_load_2addr_b64 v[4:7], v87 offset1:117
	ds_load_2addr_b64 v[12:15], v83 offset0:84 offset1:201
	ds_load_2addr_b64 v[20:23], v84 offset0:40 offset1:157
	;; [unrolled: 1-line block ×5, first 2 shown]
	s_waitcnt lgkmcnt(0)
	s_barrier
	buffer_gl0_inv
	ds_store_2addr_b64 v87, v[28:29], v[36:37] offset1:156
	ds_store_b64 v87, v[38:39] offset:2496
	ds_store_2addr_b64 v70, v[30:31], v[40:41] offset1:156
	ds_store_b64 v70, v[42:43] offset:2496
	;; [unrolled: 2-line block ×3, first 2 shown]
	ds_store_2addr_b64 v71, v[34:35], v[68:69] offset0:40 offset1:196
	ds_store_b64 v72, v[58:59] offset:9984
	s_waitcnt lgkmcnt(0)
	s_barrier
	buffer_gl0_inv
	s_and_saveexec_b32 s0, vcc_lo
	s_cbranch_execz .LBB0_21
; %bb.20:
	v_dual_mov_b32 v56, v52 :: v_dual_add_nc_u32 v51, 0xc00, v87
	v_add_nc_u32_e32 v73, 0x2400, v87
	v_add_nc_u32_e32 v65, 0x1c00, v87
	s_delay_alu instid0(VALU_DEP_3) | instskip(SKIP_1) | instid1(VALU_DEP_2)
	v_lshlrev_b64 v[24:25], 4, v[55:56]
	v_mov_b32_e32 v55, v52
	v_add_co_u32 v28, vcc_lo, s4, v24
	s_delay_alu instid0(VALU_DEP_3) | instskip(NEXT) | instid1(VALU_DEP_3)
	v_add_co_ci_u32_e32 v29, vcc_lo, s5, v25, vcc_lo
	v_lshlrev_b64 v[24:25], 4, v[54:55]
	s_delay_alu instid0(VALU_DEP_3) | instskip(NEXT) | instid1(VALU_DEP_3)
	v_add_co_u32 v36, vcc_lo, 0x1d20, v28
	v_add_co_ci_u32_e32 v37, vcc_lo, 0, v29, vcc_lo
	v_add_co_u32 v32, vcc_lo, 0x1000, v28
	v_add_co_ci_u32_e32 v33, vcc_lo, 0, v29, vcc_lo
	v_add_co_u32 v28, vcc_lo, s4, v24
	v_mov_b32_e32 v54, v52
	v_add_co_ci_u32_e32 v29, vcc_lo, s5, v25, vcc_lo
	s_delay_alu instid0(VALU_DEP_3) | instskip(NEXT) | instid1(VALU_DEP_3)
	v_add_co_u32 v44, vcc_lo, 0x1d20, v28
	v_lshlrev_b64 v[24:25], 4, v[53:54]
	s_delay_alu instid0(VALU_DEP_3) | instskip(SKIP_2) | instid1(VALU_DEP_4)
	v_add_co_ci_u32_e32 v45, vcc_lo, 0, v29, vcc_lo
	v_add_co_u32 v40, vcc_lo, 0x1000, v28
	v_add_co_ci_u32_e32 v41, vcc_lo, 0, v29, vcc_lo
	v_add_co_u32 v34, vcc_lo, s4, v24
	;; [unrolled: 2-line block ×6, first 2 shown]
	s_clause 0x1
	global_load_b128 v[24:27], v[24:25], off offset:3360
	global_load_b128 v[28:31], v[28:29], off offset:16
	v_add_co_ci_u32_e32 v54, vcc_lo, 0, v35, vcc_lo
	s_clause 0x5
	global_load_b128 v[32:35], v[32:33], off offset:3360
	global_load_b128 v[36:39], v[36:37], off offset:16
	;; [unrolled: 1-line block ×6, first 2 shown]
	ds_load_2addr_b64 v[61:64], v51 offset0:84 offset1:201
	ds_load_2addr_b64 v[65:68], v65 offset0:40 offset1:157
	v_add_nc_u32_e32 v51, 0x1400, v87
	ds_load_2addr_b64 v[69:72], v51 offset0:62 offset1:179
	ds_load_2addr_b64 v[73:76], v73 offset0:18 offset1:135
	v_mov_b32_e32 v51, v52
	v_add_co_u32 v85, vcc_lo, s8, v48
	v_add_co_ci_u32_e32 v99, vcc_lo, s9, v49, vcc_lo
	s_delay_alu instid0(VALU_DEP_3) | instskip(NEXT) | instid1(VALU_DEP_1)
	v_lshlrev_b64 v[50:51], 4, v[50:51]
	v_add_co_u32 v48, vcc_lo, v85, v50
	s_delay_alu instid0(VALU_DEP_2)
	v_add_co_ci_u32_e32 v49, vcc_lo, v99, v51, vcc_lo
	s_waitcnt vmcnt(5)
	v_mul_f64 v[81:82], v[18:19], v[34:35]
	s_waitcnt lgkmcnt(3)
	v_mul_f64 v[77:78], v[61:62], v[26:27]
	s_waitcnt lgkmcnt(2)
	v_mul_f64 v[79:80], v[65:66], v[30:31]
	v_mul_f64 v[26:27], v[12:13], v[26:27]
	;; [unrolled: 1-line block ×3, first 2 shown]
	s_waitcnt vmcnt(4)
	v_mul_f64 v[83:84], v[10:11], v[38:39]
	s_waitcnt vmcnt(3)
	v_mul_f64 v[88:89], v[16:17], v[42:43]
	;; [unrolled: 2-line block ×5, first 2 shown]
	v_mul_f64 v[55:56], v[63:64], v[55:56]
	v_mul_f64 v[59:60], v[67:68], v[59:60]
	s_waitcnt lgkmcnt(1)
	v_mul_f64 v[34:35], v[71:72], v[34:35]
	v_mul_f64 v[42:43], v[69:70], v[42:43]
	s_waitcnt lgkmcnt(0)
	v_mul_f64 v[46:47], v[73:74], v[46:47]
	v_mul_f64 v[38:39], v[75:76], v[38:39]
	v_fma_f64 v[77:78], v[12:13], v[24:25], -v[77:78]
	v_fma_f64 v[20:21], v[20:21], v[28:29], -v[79:80]
	v_fma_f64 v[24:25], v[24:25], v[61:62], v[26:27]
	v_fma_f64 v[26:27], v[28:29], v[65:66], v[30:31]
	;; [unrolled: 1-line block ×8, first 2 shown]
	v_fma_f64 v[53:54], v[14:15], v[53:54], -v[55:56]
	v_fma_f64 v[22:23], v[22:23], v[57:58], -v[59:60]
	v_fma_f64 v[18:19], v[18:19], v[32:33], -v[34:35]
	v_fma_f64 v[16:17], v[16:17], v[40:41], -v[42:43]
	v_fma_f64 v[32:33], v[8:9], v[44:45], -v[46:47]
	v_fma_f64 v[34:35], v[10:11], v[36:37], -v[38:39]
	v_add_nc_u32_e32 v12, 0x400, v87
	ds_load_2addr_b64 v[8:11], v87 offset1:117
	v_mul_hi_u32 v59, 0x46046047, v91
	v_mul_hi_u32 v60, 0x46046047, v90
	ds_load_2addr_b64 v[12:15], v12 offset0:106 offset1:223
	v_lshrrev_b32_e32 v59, 5, v59
	v_lshrrev_b32_e32 v100, 5, v60
	s_delay_alu instid0(VALU_DEP_2) | instskip(NEXT) | instid1(VALU_DEP_1)
	v_mul_u32_u24_e32 v51, 0x3a8, v59
	v_lshlrev_b64 v[97:98], 4, v[51:52]
	s_delay_alu instid0(VALU_DEP_3)
	v_mad_u32_u24 v51, 0x3a8, v100, v86
	v_add_f64 v[71:72], v[4:5], v[77:78]
	v_add_f64 v[38:39], v[77:78], v[20:21]
	s_waitcnt lgkmcnt(1)
	v_add_f64 v[69:70], v[24:25], v[8:9]
	v_add_f64 v[36:37], v[24:25], v[26:27]
	v_add_f64 v[59:60], v[77:78], -v[20:21]
	v_add_f64 v[40:41], v[28:29], v[30:31]
	v_add_f64 v[24:25], v[24:25], -v[26:27]
	v_add_f64 v[42:43], v[61:62], v[65:66]
	v_add_f64 v[81:82], v[63:64], v[10:11]
	;; [unrolled: 1-line block ×5, first 2 shown]
	v_add_f64 v[53:54], v[53:54], -v[22:23]
	v_add_f64 v[79:80], v[0:1], v[16:17]
	v_add_f64 v[55:56], v[16:17], v[32:33]
	;; [unrolled: 1-line block ×3, first 2 shown]
	v_add_f64 v[73:74], v[18:19], -v[34:35]
	v_add_f64 v[18:19], v[2:3], v[18:19]
	s_waitcnt lgkmcnt(0)
	v_add_f64 v[77:78], v[61:62], v[12:13]
	v_add_f64 v[75:76], v[28:29], v[14:15]
	v_add_f64 v[87:88], v[16:17], -v[32:33]
	v_lshlrev_b64 v[50:51], 4, v[51:52]
	v_fma_f64 v[38:39], v[38:39], -0.5, v[4:5]
	v_fma_f64 v[36:37], v[36:37], -0.5, v[8:9]
	;; [unrolled: 1-line block ×4, first 2 shown]
	v_add_f64 v[14:15], v[67:68], v[81:82]
	v_fma_f64 v[42:43], v[44:45], -0.5, v[10:11]
	v_add_f64 v[44:45], v[63:64], -v[67:68]
	v_fma_f64 v[46:47], v[46:47], -0.5, v[6:7]
	v_add_f64 v[63:64], v[28:29], -v[30:31]
	v_add_f64 v[28:29], v[61:62], -v[65:66]
	v_fma_f64 v[55:56], v[55:56], -0.5, v[0:1]
	v_fma_f64 v[57:58], v[57:58], -0.5, v[2:3]
	v_add_f64 v[2:3], v[69:70], v[26:27]
	v_add_f64 v[0:1], v[71:72], v[20:21]
	;; [unrolled: 1-line block ×6, first 2 shown]
	v_add_co_u32 v61, vcc_lo, 0x1000, v48
	v_add_f64 v[6:7], v[30:31], v[75:76]
	v_add_co_ci_u32_e32 v62, vcc_lo, 0, v49, vcc_lo
	v_add_co_u32 v91, vcc_lo, 0x3000, v48
	v_add_co_ci_u32_e32 v92, vcc_lo, 0, v49, vcc_lo
	v_add_co_u32 v93, vcc_lo, 0x2000, v48
	;; [unrolled: 2-line block ×3, first 2 shown]
	v_add_co_ci_u32_e32 v96, vcc_lo, 0, v49, vcc_lo
	v_fma_f64 v[20:21], v[24:25], s[2:3], v[38:39]
	v_fma_f64 v[16:17], v[24:25], s[6:7], v[38:39]
	;; [unrolled: 1-line block ×16, first 2 shown]
	v_add_co_u32 v53, vcc_lo, v48, v97
	v_add_co_ci_u32_e32 v54, vcc_lo, v49, v98, vcc_lo
	s_delay_alu instid0(VALU_DEP_2) | instskip(NEXT) | instid1(VALU_DEP_2)
	v_add_co_u32 v55, vcc_lo, 0x2000, v53
	v_add_co_ci_u32_e32 v56, vcc_lo, 0, v54, vcc_lo
	v_add_co_u32 v50, vcc_lo, v85, v50
	v_add_co_ci_u32_e32 v51, vcc_lo, v99, v51, vcc_lo
	;; [unrolled: 2-line block ×3, first 2 shown]
	s_delay_alu instid0(VALU_DEP_4) | instskip(NEXT) | instid1(VALU_DEP_4)
	v_add_co_u32 v59, vcc_lo, 0x1000, v50
	v_add_co_ci_u32_e32 v60, vcc_lo, 0, v51, vcc_lo
	v_add_co_u32 v63, vcc_lo, 0x3000, v50
	v_add_co_ci_u32_e32 v64, vcc_lo, 0, v51, vcc_lo
	s_clause 0xb
	global_store_b128 v[48:49], v[0:3], off
	global_store_b128 v[48:49], v[12:15], off offset:1872
	global_store_b128 v[61:62], v[20:23], off offset:3392
	;; [unrolled: 1-line block ×8, first 2 shown]
	global_store_b128 v[50:51], v[4:7], off
	global_store_b128 v[59:60], v[44:47], off offset:3392
	global_store_b128 v[63:64], v[24:27], off offset:2688
.LBB0_21:
	s_nop 0
	s_sendmsg sendmsg(MSG_DEALLOC_VGPRS)
	s_endpgm
	.section	.rodata,"a",@progbits
	.p2align	6, 0x0
	.amdhsa_kernel fft_rtc_fwd_len1404_factors_2_2_3_13_3_3_wgs_117_tpt_117_halfLds_dp_ip_CI_unitstride_sbrr_dirReg
		.amdhsa_group_segment_fixed_size 0
		.amdhsa_private_segment_fixed_size 0
		.amdhsa_kernarg_size 88
		.amdhsa_user_sgpr_count 15
		.amdhsa_user_sgpr_dispatch_ptr 0
		.amdhsa_user_sgpr_queue_ptr 0
		.amdhsa_user_sgpr_kernarg_segment_ptr 1
		.amdhsa_user_sgpr_dispatch_id 0
		.amdhsa_user_sgpr_private_segment_size 0
		.amdhsa_wavefront_size32 1
		.amdhsa_uses_dynamic_stack 0
		.amdhsa_enable_private_segment 0
		.amdhsa_system_sgpr_workgroup_id_x 1
		.amdhsa_system_sgpr_workgroup_id_y 0
		.amdhsa_system_sgpr_workgroup_id_z 0
		.amdhsa_system_sgpr_workgroup_info 0
		.amdhsa_system_vgpr_workitem_id 0
		.amdhsa_next_free_vgpr 164
		.amdhsa_next_free_sgpr 38
		.amdhsa_reserve_vcc 1
		.amdhsa_float_round_mode_32 0
		.amdhsa_float_round_mode_16_64 0
		.amdhsa_float_denorm_mode_32 3
		.amdhsa_float_denorm_mode_16_64 3
		.amdhsa_dx10_clamp 1
		.amdhsa_ieee_mode 1
		.amdhsa_fp16_overflow 0
		.amdhsa_workgroup_processor_mode 1
		.amdhsa_memory_ordered 1
		.amdhsa_forward_progress 0
		.amdhsa_shared_vgpr_count 0
		.amdhsa_exception_fp_ieee_invalid_op 0
		.amdhsa_exception_fp_denorm_src 0
		.amdhsa_exception_fp_ieee_div_zero 0
		.amdhsa_exception_fp_ieee_overflow 0
		.amdhsa_exception_fp_ieee_underflow 0
		.amdhsa_exception_fp_ieee_inexact 0
		.amdhsa_exception_int_div_zero 0
	.end_amdhsa_kernel
	.text
.Lfunc_end0:
	.size	fft_rtc_fwd_len1404_factors_2_2_3_13_3_3_wgs_117_tpt_117_halfLds_dp_ip_CI_unitstride_sbrr_dirReg, .Lfunc_end0-fft_rtc_fwd_len1404_factors_2_2_3_13_3_3_wgs_117_tpt_117_halfLds_dp_ip_CI_unitstride_sbrr_dirReg
                                        ; -- End function
	.section	.AMDGPU.csdata,"",@progbits
; Kernel info:
; codeLenInByte = 12068
; NumSgprs: 40
; NumVgprs: 164
; ScratchSize: 0
; MemoryBound: 1
; FloatMode: 240
; IeeeMode: 1
; LDSByteSize: 0 bytes/workgroup (compile time only)
; SGPRBlocks: 4
; VGPRBlocks: 20
; NumSGPRsForWavesPerEU: 40
; NumVGPRsForWavesPerEU: 164
; Occupancy: 9
; WaveLimiterHint : 1
; COMPUTE_PGM_RSRC2:SCRATCH_EN: 0
; COMPUTE_PGM_RSRC2:USER_SGPR: 15
; COMPUTE_PGM_RSRC2:TRAP_HANDLER: 0
; COMPUTE_PGM_RSRC2:TGID_X_EN: 1
; COMPUTE_PGM_RSRC2:TGID_Y_EN: 0
; COMPUTE_PGM_RSRC2:TGID_Z_EN: 0
; COMPUTE_PGM_RSRC2:TIDIG_COMP_CNT: 0
	.text
	.p2alignl 7, 3214868480
	.fill 96, 4, 3214868480
	.type	__hip_cuid_2749813148d230fa,@object ; @__hip_cuid_2749813148d230fa
	.section	.bss,"aw",@nobits
	.globl	__hip_cuid_2749813148d230fa
__hip_cuid_2749813148d230fa:
	.byte	0                               ; 0x0
	.size	__hip_cuid_2749813148d230fa, 1

	.ident	"AMD clang version 19.0.0git (https://github.com/RadeonOpenCompute/llvm-project roc-6.4.0 25133 c7fe45cf4b819c5991fe208aaa96edf142730f1d)"
	.section	".note.GNU-stack","",@progbits
	.addrsig
	.addrsig_sym __hip_cuid_2749813148d230fa
	.amdgpu_metadata
---
amdhsa.kernels:
  - .args:
      - .actual_access:  read_only
        .address_space:  global
        .offset:         0
        .size:           8
        .value_kind:     global_buffer
      - .offset:         8
        .size:           8
        .value_kind:     by_value
      - .actual_access:  read_only
        .address_space:  global
        .offset:         16
        .size:           8
        .value_kind:     global_buffer
      - .actual_access:  read_only
        .address_space:  global
        .offset:         24
        .size:           8
        .value_kind:     global_buffer
      - .offset:         32
        .size:           8
        .value_kind:     by_value
      - .actual_access:  read_only
        .address_space:  global
        .offset:         40
        .size:           8
        .value_kind:     global_buffer
      - .actual_access:  read_only
        .address_space:  global
        .offset:         48
        .size:           8
        .value_kind:     global_buffer
      - .offset:         56
        .size:           4
        .value_kind:     by_value
      - .actual_access:  read_only
        .address_space:  global
        .offset:         64
        .size:           8
        .value_kind:     global_buffer
      - .actual_access:  read_only
        .address_space:  global
        .offset:         72
        .size:           8
        .value_kind:     global_buffer
      - .address_space:  global
        .offset:         80
        .size:           8
        .value_kind:     global_buffer
    .group_segment_fixed_size: 0
    .kernarg_segment_align: 8
    .kernarg_segment_size: 88
    .language:       OpenCL C
    .language_version:
      - 2
      - 0
    .max_flat_workgroup_size: 117
    .name:           fft_rtc_fwd_len1404_factors_2_2_3_13_3_3_wgs_117_tpt_117_halfLds_dp_ip_CI_unitstride_sbrr_dirReg
    .private_segment_fixed_size: 0
    .sgpr_count:     40
    .sgpr_spill_count: 0
    .symbol:         fft_rtc_fwd_len1404_factors_2_2_3_13_3_3_wgs_117_tpt_117_halfLds_dp_ip_CI_unitstride_sbrr_dirReg.kd
    .uniform_work_group_size: 1
    .uses_dynamic_stack: false
    .vgpr_count:     164
    .vgpr_spill_count: 0
    .wavefront_size: 32
    .workgroup_processor_mode: 1
amdhsa.target:   amdgcn-amd-amdhsa--gfx1100
amdhsa.version:
  - 1
  - 2
...

	.end_amdgpu_metadata
